;; amdgpu-corpus repo=ROCm/rocFFT kind=compiled arch=gfx950 opt=O3
	.text
	.amdgcn_target "amdgcn-amd-amdhsa--gfx950"
	.amdhsa_code_object_version 6
	.protected	bluestein_single_fwd_len147_dim1_sp_op_CI_CI ; -- Begin function bluestein_single_fwd_len147_dim1_sp_op_CI_CI
	.globl	bluestein_single_fwd_len147_dim1_sp_op_CI_CI
	.p2align	8
	.type	bluestein_single_fwd_len147_dim1_sp_op_CI_CI,@function
bluestein_single_fwd_len147_dim1_sp_op_CI_CI: ; @bluestein_single_fwd_len147_dim1_sp_op_CI_CI
; %bb.0:
	s_load_dwordx4 s[16:19], s[0:1], 0x28
	v_mul_u32_u24_e32 v1, 0xc31, v0
	v_lshrrev_b32_e32 v2, 16, v1
	v_mad_u64_u32 v[44:45], s[2:3], s2, 3, v[2:3]
	v_mov_b32_e32 v41, 0
	v_mov_b32_e32 v45, v41
	s_waitcnt lgkmcnt(0)
	v_cmp_gt_u64_e32 vcc, s[16:17], v[44:45]
	s_and_saveexec_b64 s[2:3], vcc
	s_cbranch_execz .LBB0_10
; %bb.1:
	s_load_dwordx4 s[4:7], s[0:1], 0x18
	s_load_dwordx4 s[8:11], s[0:1], 0x0
	v_mul_lo_u16_e32 v1, 21, v2
	v_sub_u16_e32 v40, v0, v1
	v_mov_b32_e32 v4, s18
	s_waitcnt lgkmcnt(0)
	s_load_dwordx4 s[12:15], s[4:5], 0x0
	v_mov_b32_e32 v5, s19
	v_mov_b32_e32 v14, 0xa8
	v_lshlrev_b32_e32 v62, 3, v40
	v_mul_lo_u16_e32 v16, 7, v40
	s_waitcnt lgkmcnt(0)
	v_mad_u64_u32 v[0:1], s[2:3], s14, v44, 0
	v_mov_b32_e32 v2, v1
	v_mad_u64_u32 v[2:3], s[2:3], s15, v44, v[2:3]
	v_mov_b32_e32 v1, v2
	;; [unrolled: 2-line block ×4, first 2 shown]
	v_lshl_add_u64 v[0:1], v[0:1], 3, v[4:5]
	v_lshl_add_u64 v[0:1], v[2:3], 3, v[0:1]
	global_load_dwordx2 v[2:3], v[0:1], off
	v_mad_u64_u32 v[0:1], s[2:3], s12, v14, v[0:1]
	s_mul_i32 s4, s13, 0xa8
	v_add_u32_e32 v1, s4, v1
	v_mad_u64_u32 v[4:5], s[2:3], s12, v14, v[0:1]
	v_add_u32_e32 v5, s4, v5
	global_load_dwordx2 v[56:57], v62, s[8:9]
	global_load_dwordx2 v[54:55], v62, s[8:9] offset:168
	global_load_dwordx2 v[6:7], v[4:5], off
	v_mad_u64_u32 v[4:5], s[2:3], s12, v14, v[4:5]
	global_load_dwordx2 v[0:1], v[0:1], off
	v_add_u32_e32 v5, s4, v5
	global_load_dwordx2 v[52:53], v62, s[8:9] offset:336
	global_load_dwordx2 v[50:51], v62, s[8:9] offset:504
	global_load_dwordx2 v[8:9], v[4:5], off
	v_mad_u64_u32 v[4:5], s[2:3], s12, v14, v[4:5]
	v_add_u32_e32 v5, s4, v5
	global_load_dwordx2 v[10:11], v[4:5], off
	global_load_dwordx2 v[48:49], v62, s[8:9] offset:672
	v_mad_u64_u32 v[4:5], s[2:3], s12, v14, v[4:5]
	v_add_u32_e32 v5, s4, v5
	global_load_dwordx2 v[12:13], v[4:5], off
	global_load_dwordx2 v[46:47], v62, s[8:9] offset:840
	v_mad_u64_u32 v[4:5], s[2:3], s12, v14, v[4:5]
	v_add_u32_e32 v5, s4, v5
	global_load_dwordx2 v[42:43], v62, s[8:9] offset:1008
	global_load_dwordx2 v[14:15], v[4:5], off
	s_mov_b32 s2, 0xaaaaaaab
	v_mul_hi_u32 v4, v44, s2
	v_lshrrev_b32_e32 v4, 1, v4
	v_lshl_add_u32 v4, v4, 1, v4
	v_sub_u32_e32 v4, v44, v4
	v_mul_u32_u24_e32 v4, 0x93, v4
	v_lshlrev_b32_e32 v72, 3, v4
	v_add_u32_e32 v45, v62, v72
	s_load_dwordx4 s[4:7], s[6:7], 0x0
	v_lshl_add_u32 v69, v16, 3, v72
	s_mov_b32 s14, 0x3eae86e6
	s_mov_b32 s22, 0x3d64c772
	;; [unrolled: 1-line block ×12, first 2 shown]
	v_cmp_gt_u16_e32 vcc, 7, v40
                                        ; implicit-def: $vgpr68
                                        ; implicit-def: $vgpr70
	s_waitcnt vmcnt(12)
	v_mul_f32_e32 v4, v3, v57
	v_mul_f32_e32 v5, v2, v57
	v_fmac_f32_e32 v4, v2, v56
	v_fma_f32 v5, v3, v56, -v5
	s_waitcnt vmcnt(9)
	v_mul_f32_e32 v2, v1, v55
	v_mul_f32_e32 v3, v0, v55
	v_fmac_f32_e32 v2, v0, v54
	v_fma_f32 v3, v1, v54, -v3
	ds_write2_b64 v45, v[4:5], v[2:3] offset1:21
	s_waitcnt vmcnt(8)
	v_mul_f32_e32 v0, v7, v53
	v_mul_f32_e32 v1, v6, v53
	s_waitcnt vmcnt(6)
	v_mul_f32_e32 v2, v9, v51
	v_mul_f32_e32 v3, v8, v51
	v_fmac_f32_e32 v0, v6, v52
	v_fma_f32 v1, v7, v52, -v1
	v_fmac_f32_e32 v2, v8, v50
	v_fma_f32 v3, v9, v50, -v3
	ds_write2_b64 v45, v[0:1], v[2:3] offset0:42 offset1:63
	s_waitcnt vmcnt(4)
	v_mul_f32_e32 v0, v11, v49
	v_mul_f32_e32 v1, v10, v49
	s_waitcnt vmcnt(2)
	v_mul_f32_e32 v2, v13, v47
	v_mul_f32_e32 v3, v12, v47
	v_fmac_f32_e32 v0, v10, v48
	v_fma_f32 v1, v11, v48, -v1
	v_fmac_f32_e32 v2, v12, v46
	v_fma_f32 v3, v13, v46, -v3
	ds_write2_b64 v45, v[0:1], v[2:3] offset0:84 offset1:105
	s_waitcnt vmcnt(0)
	v_mul_f32_e32 v0, v15, v43
	v_mul_f32_e32 v1, v14, v43
	v_fmac_f32_e32 v0, v14, v42
	v_fma_f32 v1, v15, v42, -v1
	ds_write_b64 v45, v[0:1] offset:1008
	s_waitcnt lgkmcnt(0)
	; wave barrier
	s_waitcnt lgkmcnt(0)
	ds_read2_b64 v[0:3], v45 offset1:21
	ds_read2_b64 v[4:7], v45 offset0:42 offset1:63
	ds_read_b64 v[12:13], v45 offset:1008
	ds_read2_b64 v[8:11], v45 offset0:84 offset1:105
	s_waitcnt lgkmcnt(0)
	; wave barrier
	s_waitcnt lgkmcnt(0)
	v_pk_add_f32 v[14:15], v[2:3], v[12:13]
	v_pk_add_f32 v[16:17], v[4:5], v[10:11]
	;; [unrolled: 1-line block ×3, first 2 shown]
	v_pk_add_f32 v[2:3], v[2:3], v[12:13] neg_lo:[0,1] neg_hi:[0,1]
	v_pk_add_f32 v[4:5], v[4:5], v[10:11] neg_lo:[0,1] neg_hi:[0,1]
	;; [unrolled: 1-line block ×3, first 2 shown]
	v_pk_add_f32 v[8:9], v[16:17], v[14:15]
	v_mov_b32_e32 v10, v18
	v_mov_b32_e32 v11, v15
	;; [unrolled: 1-line block ×4, first 2 shown]
	v_pk_add_f32 v[8:9], v[18:19], v[8:9]
	v_pk_add_f32 v[10:11], v[10:11], v[12:13] neg_lo:[0,1] neg_hi:[0,1]
	v_mov_b32_e32 v12, v14
	v_mov_b32_e32 v19, v17
	;; [unrolled: 1-line block ×6, first 2 shown]
	v_pk_add_f32 v[12:13], v[12:13], v[18:19] neg_lo:[0,1] neg_hi:[0,1]
	v_pk_add_f32 v[18:19], v[6:7], v[4:5]
	v_pk_add_f32 v[20:21], v[20:21], v[22:23] neg_lo:[0,1] neg_hi:[0,1]
	v_mov_b32_e32 v22, v3
	v_mov_b32_e32 v6, v7
	;; [unrolled: 1-line block ×3, first 2 shown]
	v_pk_add_f32 v[0:1], v[0:1], v[8:9]
	v_pk_add_f32 v[6:7], v[22:23], v[6:7] neg_lo:[0,1] neg_hi:[0,1]
	v_pk_add_f32 v[18:19], v[18:19], v[2:3]
	v_pk_mul_f32 v[10:11], v[10:11], s[22:23]
	v_pk_mul_f32 v[20:21], v[20:21], s[24:25]
	;; [unrolled: 1-line block ×3, first 2 shown]
	v_pk_mul_f32 v[24:25], v[18:19], s[12:13] op_sel_hi:[1,0]
	v_pk_mul_f32 v[26:27], v[6:7], s[14:15]
	v_pk_fma_f32 v[8:9], v[8:9], s[18:19], v[0:1] op_sel_hi:[1,0,1] neg_lo:[1,0,0] neg_hi:[1,0,0]
	v_pk_fma_f32 v[12:13], v[12:13], s[2:3], v[10:11]
	v_pk_fma_f32 v[6:7], v[6:7], s[14:15], v[20:21]
	v_pk_add_f32 v[12:13], v[12:13], v[8:9]
	v_pk_add_f32 v[6:7], v[24:25], v[6:7] op_sel:[1,0] op_sel_hi:[0,1]
	v_pk_add_f32 v[24:25], v[12:13], v[6:7]
	v_pk_add_f32 v[6:7], v[12:13], v[6:7] neg_lo:[0,1] neg_hi:[0,1]
	v_mov_b32_e32 v12, v24
	v_mov_b32_e32 v13, v7
	ds_write2_b64 v69, v[0:1], v[12:13] offset1:1
	v_pk_add_f32 v[0:1], v[16:17], v[14:15] neg_lo:[0,1] neg_hi:[0,1]
	v_pk_add_f32 v[2:3], v[4:5], v[2:3] neg_lo:[0,1] neg_hi:[0,1]
	v_mov_b32_e32 v4, v22
	v_mov_b32_e32 v5, v11
	;; [unrolled: 1-line block ×3, first 2 shown]
	v_pk_fma_f32 v[4:5], v[0:1], s[20:21], v[4:5] op_sel_hi:[1,0,1] neg_lo:[1,0,1] neg_hi:[1,0,1]
	v_mov_b32_e32 v12, v21
	v_mov_b32_e32 v13, v26
	v_pk_fma_f32 v[0:1], v[0:1], s[20:21], v[10:11] op_sel_hi:[1,0,1] neg_lo:[0,0,1] neg_hi:[0,0,1]
	v_mov_b32_e32 v10, v27
	v_mov_b32_e32 v11, v20
	v_pk_fma_f32 v[12:13], v[2:3], s[16:17], v[12:13] op_sel_hi:[1,0,1] neg_lo:[1,0,1] neg_hi:[1,0,1]
	v_pk_fma_f32 v[2:3], v[2:3], s[16:17], v[10:11] op_sel_hi:[1,0,1] neg_lo:[0,0,1] neg_hi:[0,0,1]
	v_pk_add_f32 v[4:5], v[4:5], v[8:9]
	v_pk_fma_f32 v[12:13], v[18:19], s[12:13], v[12:13] op_sel_hi:[1,0,1]
	v_pk_add_f32 v[0:1], v[0:1], v[8:9]
	v_pk_fma_f32 v[2:3], v[18:19], s[12:13], v[2:3] op_sel_hi:[1,0,1]
	v_pk_add_f32 v[14:15], v[4:5], v[12:13] op_sel:[0,1] op_sel_hi:[1,0]
	v_pk_add_f32 v[4:5], v[4:5], v[12:13] op_sel:[0,1] op_sel_hi:[1,0] neg_lo:[0,1] neg_hi:[0,1]
	v_pk_add_f32 v[8:9], v[0:1], v[2:3] op_sel:[0,1] op_sel_hi:[1,0] neg_lo:[0,1] neg_hi:[0,1]
	v_pk_add_f32 v[0:1], v[0:1], v[2:3] op_sel:[0,1] op_sel_hi:[1,0]
	v_mov_b32_e32 v3, v5
	v_mov_b32_e32 v11, v1
	;; [unrolled: 1-line block ×4, first 2 shown]
	ds_write2_b64 v69, v[0:1], v[4:5] offset0:4 offset1:5
	v_mov_b32_e32 v0, 37
	v_mul_lo_u16_sdwa v0, v40, v0 dst_sel:DWORD dst_unused:UNUSED_PAD src0_sel:BYTE_0 src1_sel:DWORD
	v_sub_u16_sdwa v1, v40, v0 dst_sel:DWORD dst_unused:UNUSED_PAD src0_sel:DWORD src1_sel:BYTE_1
	v_lshrrev_b16_e32 v1, 1, v1
	v_and_b32_e32 v1, 0x7f, v1
	v_add_u16_sdwa v0, v1, v0 dst_sel:DWORD dst_unused:UNUSED_PAD src0_sel:DWORD src1_sel:BYTE_1
	v_lshrrev_b16_e32 v63, 2, v0
	v_mul_lo_u16_e32 v0, 7, v63
	v_sub_u16_e32 v64, v40, v0
	v_mov_b32_e32 v0, 6
	v_mul_u32_u24_sdwa v0, v64, v0 dst_sel:DWORD dst_unused:UNUSED_PAD src0_sel:BYTE_0 src1_sel:DWORD
	v_mov_b32_e32 v2, v14
	v_mov_b32_e32 v10, v8
	;; [unrolled: 1-line block ×3, first 2 shown]
	v_lshlrev_b32_e32 v12, 3, v0
	ds_write2_b64 v69, v[2:3], v[10:11] offset0:2 offset1:3
	ds_write_b64 v69, v[6:7] offset:48
	s_waitcnt lgkmcnt(0)
	; wave barrier
	s_waitcnt lgkmcnt(0)
	global_load_dwordx4 v[0:3], v12, s[10:11] offset:16
	global_load_dwordx4 v[8:11], v12, s[10:11]
	global_load_dwordx4 v[4:7], v12, s[10:11] offset:32
	ds_read2_b64 v[12:15], v45 offset0:42 offset1:63
	ds_read2_b64 v[16:19], v45 offset1:21
	ds_read2_b64 v[20:23], v45 offset0:84 offset1:105
	s_waitcnt lgkmcnt(2)
	v_mov_b32_e32 v27, v12
	v_mov_b32_e32 v26, v14
	s_waitcnt lgkmcnt(0)
	v_mov_b32_e32 v37, v20
	s_waitcnt vmcnt(2)
	v_mov_b32_e32 v59, v0
	s_waitcnt vmcnt(1)
	v_mul_f32_e32 v0, v13, v11
	v_fma_f32 v25, v12, v10, -v0
	v_mov_b32_e32 v12, v15
	v_mov_b32_e32 v30, v1
	;; [unrolled: 1-line block ×5, first 2 shown]
	v_pk_mul_f32 v[12:13], v[12:13], v[30:31]
	v_mov_b32_e32 v0, v9
	v_pk_fma_f32 v[26:27], v[26:27], v[28:29], v[12:13]
	v_pk_fma_f32 v[12:13], v[14:15], v[28:29], v[12:13] neg_lo:[0,0,1] neg_hi:[0,0,1]
	v_mov_b32_e32 v29, v15
	v_mov_b32_e32 v15, v14
	;; [unrolled: 1-line block ×5, first 2 shown]
	v_pk_mul_f32 v[14:15], v[14:15], v[0:1]
	v_mov_b32_e32 v32, v3
	v_pk_fma_f32 v[30:31], v[28:29], v[58:59], v[14:15] neg_lo:[0,0,1] neg_hi:[0,0,1]
	v_pk_fma_f32 v[14:15], v[28:29], v[58:59], v[14:15]
	v_mov_b32_e32 v28, v21
	v_mov_b32_e32 v29, v22
	s_waitcnt vmcnt(0)
	v_mov_b32_e32 v33, v5
	v_pk_mul_f32 v[28:29], v[28:29], v[32:33]
	v_mov_b32_e32 v32, v20
	v_mov_b32_e32 v33, v23
	;; [unrolled: 1-line block ×4, first 2 shown]
	v_pk_fma_f32 v[32:33], v[32:33], v[34:35], v[28:29]
	v_pk_fma_f32 v[28:29], v[20:21], v[34:35], v[28:29] neg_lo:[0,0,1] neg_hi:[0,0,1]
	ds_read_b64 v[34:35], v45 offset:1008
	v_mov_b32_e32 v61, v2
	v_mul_f32_e32 v2, v23, v5
	v_fma_f32 v23, v22, v4, -v2
	v_mov_b32_e32 v2, v7
	s_waitcnt lgkmcnt(0)
	v_mul_f32_e32 v38, v34, v7
	v_mov_b32_e32 v36, v35
	v_fmac_f32_e32 v38, v35, v6
	v_mov_b32_e32 v20, v34
	v_mov_b32_e32 v60, v6
	v_pk_mul_f32 v[34:35], v[36:37], v[2:3]
	v_mul_f32_e32 v18, v18, v9
	v_pk_fma_f32 v[36:37], v[20:21], v[60:61], v[34:35] neg_lo:[0,0,1] neg_hi:[0,0,1]
	v_pk_fma_f32 v[20:21], v[20:21], v[60:61], v[34:35]
	v_mov_b32_e32 v24, v27
	v_mov_b32_e32 v22, v33
	v_fmac_f32_e32 v18, v19, v8
	v_mov_b32_e32 v19, v30
	v_mov_b32_e32 v39, v36
	;; [unrolled: 1-line block ×4, first 2 shown]
	v_add_f32_e32 v14, v25, v23
	v_pk_add_f32 v[22:23], v[24:25], v[22:23] neg_lo:[0,1] neg_hi:[0,1]
	v_mov_b32_e32 v37, v21
	v_mov_b32_e32 v20, v21
	;; [unrolled: 1-line block ×5, first 2 shown]
	v_add_f32_e32 v35, v18, v38
	v_pk_add_f32 v[18:19], v[18:19], v[38:39] neg_lo:[0,1] neg_hi:[0,1]
	v_pk_add_f32 v[28:29], v[12:13], v[28:29]
	v_pk_add_f32 v[12:13], v[20:21], v[24:25] neg_lo:[0,1] neg_hi:[0,1]
	v_mov_b32_e32 v31, v15
	v_mov_b32_e32 v20, v12
	;; [unrolled: 1-line block ×5, first 2 shown]
	v_pk_add_f32 v[26:27], v[30:31], v[36:37]
	v_pk_add_f32 v[20:21], v[20:21], v[24:25] neg_lo:[0,1] neg_hi:[0,1]
	v_mov_b32_e32 v24, v18
	v_pk_add_f32 v[30:31], v[12:13], v[22:23]
	v_mov_b32_e32 v13, v23
	v_mul_u32_u24_e32 v15, 49, v63
	v_pk_add_f32 v[12:13], v[24:25], v[12:13] neg_lo:[0,1] neg_hi:[0,1]
	v_add_f32_e32 v24, v14, v26
	v_mov_b32_e32 v25, v27
	v_add_f32_e32 v33, v29, v35
	v_mov_b32_e32 v32, v28
	v_add_u32_sdwa v63, v15, v64 dst_sel:DWORD dst_unused:UNUSED_PAD src0_sel:DWORD src1_sel:BYTE_0
	v_mov_b32_e32 v34, v28
	v_mov_b32_e32 v15, v27
	v_pk_add_f32 v[24:25], v[24:25], v[32:33]
	v_pk_add_f32 v[32:33], v[34:35], v[14:15] neg_lo:[0,1] neg_hi:[0,1]
	v_pk_add_f32 v[16:17], v[16:17], v[24:25]
	v_pk_mul_f32 v[32:33], v[32:33], s[22:23]
	v_pk_mul_f32 v[20:21], v[20:21], s[24:25]
	v_pk_add_f32 v[38:39], v[26:27], v[28:29] neg_lo:[0,1] neg_hi:[0,1]
	v_pk_add_f32 v[30:31], v[30:31], v[18:19]
	v_pk_fma_f32 v[36:37], v[24:25], s[18:19], v[16:17] op_sel_hi:[1,0,1] neg_lo:[1,0,0] neg_hi:[1,0,0]
	v_pk_fma_f32 v[24:25], v[38:39], s[2:3], v[32:33]
	v_pk_fma_f32 v[64:65], v[12:13], s[14:15], v[20:21]
	v_pk_add_f32 v[24:25], v[24:25], v[36:37]
	v_pk_fma_f32 v[64:65], v[30:31], s[12:13], v[64:65] op_sel_hi:[1,0,1]
	v_lshl_add_u32 v71, v63, 3, v72
	v_pk_add_f32 v[66:67], v[24:25], v[64:65]
	v_pk_add_f32 v[24:25], v[24:25], v[64:65] neg_lo:[0,1] neg_hi:[0,1]
	v_mov_b32_e32 v64, v66
	v_mov_b32_e32 v65, v25
	s_waitcnt lgkmcnt(0)
	; wave barrier
	ds_write2_b64 v71, v[16:17], v[64:65] offset1:7
	v_mov_b32_e32 v15, v29
	v_mov_b32_e32 v27, v35
	v_pk_add_f32 v[16:17], v[22:23], v[18:19] neg_lo:[0,1] neg_hi:[0,1]
	v_pk_mul_f32 v[18:19], v[38:39], s[2:3]
	v_pk_mul_f32 v[12:13], v[12:13], s[14:15]
	v_pk_add_f32 v[14:15], v[14:15], v[26:27] neg_lo:[0,1] neg_hi:[0,1]
	v_mov_b32_e32 v22, v18
	v_mov_b32_e32 v23, v33
	;; [unrolled: 1-line block ×6, first 2 shown]
	v_pk_fma_f32 v[22:23], v[14:15], s[20:21], v[22:23] op_sel_hi:[1,0,1] neg_lo:[1,0,1] neg_hi:[1,0,1]
	v_pk_fma_f32 v[26:27], v[16:17], s[16:17], v[26:27] op_sel_hi:[1,0,1] neg_lo:[1,0,1] neg_hi:[1,0,1]
	;; [unrolled: 1-line block ×4, first 2 shown]
	v_pk_add_f32 v[22:23], v[22:23], v[36:37]
	v_pk_fma_f32 v[26:27], v[30:31], s[12:13], v[26:27] op_sel_hi:[1,0,1]
	v_pk_add_f32 v[14:15], v[14:15], v[36:37]
	v_pk_fma_f32 v[12:13], v[30:31], s[12:13], v[12:13] op_sel_hi:[1,0,1]
	v_pk_add_f32 v[28:29], v[22:23], v[26:27]
	v_pk_add_f32 v[22:23], v[22:23], v[26:27] neg_lo:[0,1] neg_hi:[0,1]
	v_pk_add_f32 v[18:19], v[14:15], v[12:13] neg_lo:[0,1] neg_hi:[0,1]
	v_pk_add_f32 v[12:13], v[14:15], v[12:13]
	v_mov_b32_e32 v16, v28
	v_mov_b32_e32 v17, v23
	;; [unrolled: 1-line block ×7, first 2 shown]
	ds_write2_b64 v71, v[16:17], v[14:15] offset0:14 offset1:21
	ds_write2_b64 v71, v[12:13], v[22:23] offset0:28 offset1:35
	ds_write_b64 v71, v[24:25] offset:336
	s_waitcnt lgkmcnt(0)
	; wave barrier
	s_waitcnt lgkmcnt(0)
	ds_read2_b64 v[28:31], v45 offset1:21
	ds_read2_b64 v[32:35], v45 offset0:49 offset1:70
	ds_read2_b64 v[36:39], v45 offset0:98 offset1:119
	s_load_dwordx2 s[2:3], s[0:1], 0x38
	v_mov_b32_e32 v63, v41
	v_mov_b32_e32 v64, v3
	;; [unrolled: 1-line block ×3, first 2 shown]
	v_cmp_lt_u16_e64 s[0:1], 6, v40
                                        ; implicit-def: $vgpr66
	s_and_saveexec_b64 s[12:13], vcc
	s_cbranch_execz .LBB0_3
; %bb.2:
	ds_read2_b64 v[24:27], v45 offset0:42 offset1:91
	ds_read_b64 v[66:67], v45 offset:1120
	s_waitcnt lgkmcnt(0)
	v_mov_b32_e32 v68, v27
	v_mov_b32_e32 v70, v67
.LBB0_3:
	s_or_b64 exec, exec, s[12:13]
	v_lshlrev_b32_e32 v14, 4, v40
	global_load_dwordx4 v[16:19], v14, s[10:11] offset:336
	v_add_u32_e32 v14, 0x150, v14
	v_lshl_add_u64 v[12:13], v[40:41], 0, 42
	global_load_dwordx4 v[20:23], v14, s[10:11] offset:336
	v_lshl_add_u64 v[14:15], v[40:41], 0, -7
	v_cndmask_b32_e32 v13, v15, v13, vcc
	v_cndmask_b32_e32 v12, v14, v12, vcc
	v_lshl_add_u64 v[12:13], v[12:13], 4, s[10:11]
	global_load_dwordx4 v[12:15], v[12:13], off offset:336
	v_lshl_add_u32 v41, v40, 3, v72
	s_mov_b32 s10, 0x3f5db3d7
	v_lshl_add_u64 v[62:63], s[8:9], 0, v[62:63]
	s_waitcnt vmcnt(2) lgkmcnt(0)
	v_pk_mul_f32 v[72:73], v[32:33], v[16:17] op_sel:[0,1]
	v_mov_b32_e32 v74, v19
	v_pk_fma_f32 v[76:77], v[32:33], v[16:17], v[72:73] op_sel:[0,0,1] op_sel_hi:[1,1,0] neg_lo:[0,0,1] neg_hi:[0,0,1]
	v_pk_fma_f32 v[32:33], v[32:33], v[16:17], v[72:73] op_sel:[0,0,1] op_sel_hi:[1,0,0]
	v_pk_mul_f32 v[72:73], v[36:37], v[74:75] op_sel_hi:[1,0]
	s_waitcnt vmcnt(1)
	v_pk_mul_f32 v[74:75], v[34:35], v[20:21] op_sel:[0,1]
	v_mov_b32_e32 v32, v23
	v_mov_b32_e32 v77, v33
	s_waitcnt vmcnt(0)
	v_pk_mul_f32 v[26:27], v[26:27], v[12:13] op_sel_hi:[0,1]
	v_pk_mul_f32 v[66:67], v[66:67], v[14:15] op_sel_hi:[0,1]
	v_pk_fma_f32 v[78:79], v[36:37], v[18:19], v[72:73] op_sel:[0,0,1] op_sel_hi:[1,1,0] neg_lo:[0,0,1] neg_hi:[0,0,1]
	v_pk_fma_f32 v[36:37], v[36:37], v[18:19], v[72:73] op_sel:[0,0,1] op_sel_hi:[1,0,0]
	v_pk_fma_f32 v[72:73], v[34:35], v[20:21], v[74:75] op_sel:[0,0,1] op_sel_hi:[1,1,0] neg_lo:[0,0,1] neg_hi:[0,0,1]
	v_pk_fma_f32 v[34:35], v[34:35], v[20:21], v[74:75] op_sel:[0,0,1] op_sel_hi:[1,0,0]
	v_pk_mul_f32 v[32:33], v[38:39], v[32:33] op_sel_hi:[1,0]
	v_pk_fma_f32 v[74:75], v[68:69], v[12:13], v[26:27] op_sel:[0,0,1] op_sel_hi:[0,1,0]
	v_pk_fma_f32 v[26:27], v[68:69], v[12:13], v[26:27] op_sel:[0,0,1] op_sel_hi:[0,1,0] neg_lo:[1,0,0] neg_hi:[1,0,0]
	v_pk_fma_f32 v[80:81], v[70:71], v[14:15], v[66:67] op_sel:[0,0,1] op_sel_hi:[0,1,0]
	v_pk_fma_f32 v[66:67], v[70:71], v[14:15], v[66:67] op_sel:[0,0,1] op_sel_hi:[0,1,0] neg_lo:[1,0,0] neg_hi:[1,0,0]
	v_mov_b32_e32 v79, v37
	v_mov_b32_e32 v73, v35
	v_pk_fma_f32 v[34:35], v[38:39], v[22:23], v[32:33] op_sel:[0,0,1] op_sel_hi:[1,1,0] neg_lo:[0,0,1] neg_hi:[0,0,1]
	v_pk_fma_f32 v[38:39], v[38:39], v[22:23], v[32:33] op_sel:[0,0,1] op_sel_hi:[1,0,0]
	v_pk_add_f32 v[36:37], v[28:29], v[76:77]
	v_mov_b32_e32 v75, v27
	v_mov_b32_e32 v81, v67
	;; [unrolled: 1-line block ×6, first 2 shown]
	v_pk_add_f32 v[66:67], v[76:77], v[78:79]
	v_pk_add_f32 v[76:77], v[76:77], v[78:79] neg_lo:[0,1] neg_hi:[0,1]
	v_mov_b32_e32 v35, v39
	v_pk_add_f32 v[38:39], v[30:31], v[72:73]
	v_pk_add_f32 v[36:37], v[36:37], v[78:79]
	;; [unrolled: 1-line block ×3, first 2 shown]
	v_pk_fma_f32 v[28:29], v[66:67], 0.5, v[28:29] op_sel_hi:[1,0,1] neg_lo:[1,0,0] neg_hi:[1,0,0]
	v_pk_mul_f32 v[66:67], v[76:77], s[10:11] op_sel_hi:[1,0]
	v_pk_add_f32 v[38:39], v[38:39], v[34:35]
	v_pk_add_f32 v[76:77], v[72:73], v[34:35]
	v_pk_add_f32 v[34:35], v[72:73], v[34:35] neg_lo:[0,1] neg_hi:[0,1]
	v_pk_add_f32 v[74:75], v[74:75], v[80:81] neg_lo:[0,1] neg_hi:[0,1]
	v_pk_fma_f32 v[72:73], v[78:79], 0.5, v[24:25] op_sel_hi:[1,0,1] neg_lo:[1,0,0] neg_hi:[1,0,0]
	v_pk_add_f32 v[78:79], v[28:29], v[66:67] op_sel:[0,1] op_sel_hi:[1,0]
	v_pk_add_f32 v[66:67], v[28:29], v[66:67] op_sel:[0,1] op_sel_hi:[1,0] neg_lo:[0,1] neg_hi:[0,1]
	v_pk_fma_f32 v[76:77], v[76:77], 0.5, v[30:31] op_sel_hi:[1,0,1] neg_lo:[1,0,0] neg_hi:[1,0,0]
	v_pk_mul_f32 v[34:35], v[34:35], s[10:11] op_sel_hi:[1,0]
	v_pk_fma_f32 v[28:29], v[74:75], s[10:11], v[72:73] op_sel_hi:[1,0,1] neg_lo:[1,0,0] neg_hi:[1,0,0]
	v_pk_fma_f32 v[30:31], v[74:75], s[10:11], v[72:73] op_sel_hi:[1,0,1]
	v_mov_b32_e32 v72, v78
	v_mov_b32_e32 v73, v67
	;; [unrolled: 1-line block ×3, first 2 shown]
	v_pk_add_f32 v[74:75], v[76:77], v[34:35] op_sel:[0,1] op_sel_hi:[1,0]
	v_pk_add_f32 v[34:35], v[76:77], v[34:35] op_sel:[0,1] op_sel_hi:[1,0] neg_lo:[0,1] neg_hi:[0,1]
	ds_write2_b64 v41, v[72:73], v[66:67] offset0:49 offset1:98
	ds_write2_b64 v45, v[36:37], v[38:39] offset1:21
	v_mov_b32_e32 v36, v74
	v_mov_b32_e32 v37, v35
	;; [unrolled: 1-line block ×3, first 2 shown]
	ds_write2_b64 v45, v[36:37], v[34:35] offset0:70 offset1:119
	s_and_saveexec_b64 s[10:11], vcc
	s_cbranch_execz .LBB0_5
; %bb.4:
	v_pk_add_f32 v[24:25], v[24:25], v[26:27]
	v_mov_b32_e32 v26, v28
	v_pk_add_f32 v[24:25], v[24:25], v[32:33]
	ds_write_b64 v45, v[24:25] offset:336
	v_mov_b32_e32 v24, v30
	v_mov_b32_e32 v25, v29
	;; [unrolled: 1-line block ×3, first 2 shown]
	ds_write2_b64 v41, v[24:25], v[26:27] offset0:91 offset1:140
.LBB0_5:
	s_or_b64 exec, exec, s[10:11]
	s_waitcnt lgkmcnt(0)
	; wave barrier
	s_waitcnt lgkmcnt(0)
	global_load_dwordx2 v[62:63], v[62:63], off offset:1176
	s_add_u32 s8, s8, 0x498
	s_addc_u32 s9, s9, 0
	v_lshlrev_b32_e32 v24, 3, v40
	global_load_dwordx2 v[66:67], v24, s[8:9] offset:168
	global_load_dwordx2 v[72:73], v24, s[8:9] offset:336
	;; [unrolled: 1-line block ×6, first 2 shown]
	ds_read2_b64 v[24:27], v45 offset1:21
	ds_read2_b64 v[32:35], v45 offset0:42 offset1:63
	ds_read2_b64 v[36:39], v45 offset0:84 offset1:105
	ds_read_b64 v[82:83], v45 offset:1008
	s_mov_b32 s20, 0xbeae86e6
	s_mov_b32 s12, 0x3d64c772
	;; [unrolled: 1-line block ×12, first 2 shown]
	s_waitcnt vmcnt(6) lgkmcnt(3)
	v_mul_f32_e32 v68, v25, v63
	v_mul_f32_e32 v85, v24, v63
	v_fma_f32 v84, v24, v62, -v68
	v_fmac_f32_e32 v85, v25, v62
	s_waitcnt vmcnt(5)
	v_mul_f32_e32 v24, v27, v67
	v_mul_f32_e32 v25, v26, v67
	s_waitcnt vmcnt(4) lgkmcnt(2)
	v_mul_f32_e32 v62, v33, v73
	v_mul_f32_e32 v63, v32, v73
	s_waitcnt vmcnt(3)
	v_mul_f32_e32 v68, v35, v75
	v_mul_f32_e32 v67, v34, v75
	s_waitcnt vmcnt(2) lgkmcnt(1)
	v_mul_f32_e32 v70, v37, v77
	v_mul_f32_e32 v73, v36, v77
	;; [unrolled: 6-line block ×3, first 2 shown]
	v_fma_f32 v24, v26, v66, -v24
	v_fmac_f32_e32 v25, v27, v66
	v_fma_f32 v62, v32, v72, -v62
	v_fmac_f32_e32 v63, v33, v72
	v_fma_f32 v66, v34, v74, -v68
	v_fmac_f32_e32 v67, v35, v74
	v_fma_f32 v72, v36, v76, -v70
	v_fmac_f32_e32 v73, v37, v76
	v_fma_f32 v74, v38, v78, -v86
	v_fmac_f32_e32 v75, v39, v78
	v_fma_f32 v76, v82, v80, -v79
	v_fmac_f32_e32 v77, v83, v80
	ds_write2_b64 v45, v[84:85], v[24:25] offset1:21
	ds_write2_b64 v45, v[62:63], v[66:67] offset0:42 offset1:63
	ds_write2_b64 v45, v[72:73], v[74:75] offset0:84 offset1:105
	ds_write_b64 v45, v[76:77] offset:1008
	s_waitcnt lgkmcnt(0)
	; wave barrier
	s_waitcnt lgkmcnt(0)
	ds_read2_b64 v[24:27], v45 offset1:21
	ds_read2_b64 v[32:35], v45 offset0:42 offset1:63
	ds_read_b64 v[62:63], v45 offset:1008
	ds_read2_b64 v[36:39], v45 offset0:84 offset1:105
	s_waitcnt lgkmcnt(0)
	; wave barrier
	s_waitcnt lgkmcnt(0)
	v_pk_add_f32 v[66:67], v[26:27], v[62:63]
	v_pk_add_f32 v[72:73], v[32:33], v[38:39]
	;; [unrolled: 1-line block ×3, first 2 shown]
	v_pk_add_f32 v[26:27], v[26:27], v[62:63] neg_lo:[0,1] neg_hi:[0,1]
	v_pk_add_f32 v[32:33], v[32:33], v[38:39] neg_lo:[0,1] neg_hi:[0,1]
	;; [unrolled: 1-line block ×3, first 2 shown]
	v_pk_add_f32 v[36:37], v[72:73], v[66:67]
	v_mov_b32_e32 v38, v74
	v_mov_b32_e32 v39, v67
	;; [unrolled: 1-line block ×10, first 2 shown]
	v_pk_add_f32 v[78:79], v[34:35], v[32:33]
	v_mov_b32_e32 v84, v27
	v_mov_b32_e32 v85, v34
	;; [unrolled: 1-line block ×4, first 2 shown]
	v_pk_add_f32 v[36:37], v[74:75], v[36:37]
	v_pk_add_f32 v[38:39], v[38:39], v[62:63] neg_lo:[0,1] neg_hi:[0,1]
	v_mov_b32_e32 v75, v73
	v_pk_add_f32 v[62:63], v[80:81], v[82:83] neg_lo:[0,1] neg_hi:[0,1]
	v_pk_add_f32 v[34:35], v[84:85], v[34:35] neg_lo:[0,1] neg_hi:[0,1]
	v_pk_add_f32 v[78:79], v[78:79], v[26:27]
	v_pk_add_f32 v[24:25], v[24:25], v[36:37]
	v_pk_add_f32 v[74:75], v[76:77], v[74:75] neg_lo:[0,1] neg_hi:[0,1]
	v_pk_mul_f32 v[38:39], v[38:39], s[12:13]
	v_pk_mul_f32 v[62:63], v[62:63], s[22:23]
	;; [unrolled: 1-line block ×3, first 2 shown]
	v_pk_mul_f32 v[80:81], v[78:79], s[8:9] op_sel_hi:[1,0]
	v_pk_mul_f32 v[82:83], v[34:35], s[20:21]
	v_pk_fma_f32 v[36:37], v[36:37], s[10:11], v[24:25] op_sel_hi:[1,0,1] neg_lo:[1,0,0] neg_hi:[1,0,0]
	v_pk_fma_f32 v[74:75], v[74:75], s[14:15], v[38:39]
	v_pk_fma_f32 v[34:35], v[34:35], s[20:21], v[62:63]
	v_pk_add_f32 v[74:75], v[74:75], v[36:37]
	v_pk_add_f32 v[34:35], v[80:81], v[34:35] op_sel:[1,0] op_sel_hi:[0,1]
	v_pk_add_f32 v[80:81], v[74:75], v[34:35]
	v_pk_add_f32 v[34:35], v[74:75], v[34:35] neg_lo:[0,1] neg_hi:[0,1]
	v_mov_b32_e32 v74, v80
	v_mov_b32_e32 v75, v35
	ds_write2_b64 v69, v[24:25], v[74:75] offset1:1
	v_pk_add_f32 v[24:25], v[72:73], v[66:67] neg_lo:[0,1] neg_hi:[0,1]
	v_pk_add_f32 v[26:27], v[32:33], v[26:27] neg_lo:[0,1] neg_hi:[0,1]
	v_mov_b32_e32 v32, v76
	v_mov_b32_e32 v33, v39
	;; [unrolled: 1-line block ×3, first 2 shown]
	v_pk_fma_f32 v[32:33], v[24:25], s[16:17], v[32:33] op_sel_hi:[1,0,1] neg_lo:[1,0,1] neg_hi:[1,0,1]
	v_mov_b32_e32 v66, v63
	v_mov_b32_e32 v67, v82
	v_pk_fma_f32 v[24:25], v[24:25], s[16:17], v[38:39] op_sel_hi:[1,0,1] neg_lo:[0,0,1] neg_hi:[0,0,1]
	v_mov_b32_e32 v38, v83
	v_mov_b32_e32 v39, v62
	v_pk_fma_f32 v[66:67], v[26:27], s[18:19], v[66:67] op_sel_hi:[1,0,1] neg_lo:[1,0,1] neg_hi:[1,0,1]
	v_pk_fma_f32 v[26:27], v[26:27], s[18:19], v[38:39] op_sel_hi:[1,0,1] neg_lo:[0,0,1] neg_hi:[0,0,1]
	v_pk_add_f32 v[32:33], v[32:33], v[36:37]
	v_pk_fma_f32 v[66:67], v[78:79], s[8:9], v[66:67] op_sel_hi:[1,0,1]
	v_pk_add_f32 v[24:25], v[24:25], v[36:37]
	v_pk_fma_f32 v[26:27], v[78:79], s[8:9], v[26:27] op_sel_hi:[1,0,1]
	v_pk_add_f32 v[72:73], v[32:33], v[66:67] op_sel:[0,1] op_sel_hi:[1,0]
	v_pk_add_f32 v[32:33], v[32:33], v[66:67] op_sel:[0,1] op_sel_hi:[1,0] neg_lo:[0,1] neg_hi:[0,1]
	v_pk_add_f32 v[36:37], v[24:25], v[26:27] op_sel:[0,1] op_sel_hi:[1,0] neg_lo:[0,1] neg_hi:[0,1]
	v_pk_add_f32 v[24:25], v[24:25], v[26:27] op_sel:[0,1] op_sel_hi:[1,0]
	v_mov_b32_e32 v26, v72
	v_mov_b32_e32 v27, v33
	;; [unrolled: 1-line block ×7, first 2 shown]
	ds_write2_b64 v69, v[26:27], v[38:39] offset0:2 offset1:3
	ds_write2_b64 v69, v[24:25], v[32:33] offset0:4 offset1:5
	ds_write_b64 v69, v[34:35] offset:48
	s_waitcnt lgkmcnt(0)
	; wave barrier
	s_waitcnt lgkmcnt(0)
	ds_read2_b64 v[24:27], v45 offset1:21
	ds_read2_b64 v[32:35], v45 offset0:42 offset1:63
	ds_read2_b64 v[36:39], v45 offset0:84 offset1:105
	ds_read_b64 v[74:75], v45 offset:1008
	v_mov_b32_e32 v79, v10
	s_waitcnt lgkmcnt(3)
	v_mov_b32_e32 v66, v27
	s_waitcnt lgkmcnt(2)
	v_pk_mul_f32 v[68:69], v[10:11], v[32:33]
	s_waitcnt lgkmcnt(1)
	v_mul_f32_e32 v73, v4, v38
	v_mul_f32_e32 v77, v5, v39
	v_mov_b32_e32 v72, v68
	v_mov_b32_e32 v76, v69
	v_pk_mul_f32 v[8:9], v[8:9], v[26:27] op_sel:[0,1] op_sel_hi:[1,0]
	v_pk_add_f32 v[68:69], v[72:73], v[76:77]
	s_waitcnt lgkmcnt(0)
	v_pk_mul_f32 v[6:7], v[6:7], v[74:75] op_sel:[0,1] op_sel_hi:[1,0]
	v_mov_b32_e32 v67, v34
	v_mov_b32_e32 v76, v8
	;; [unrolled: 1-line block ×7, first 2 shown]
	v_pk_mul_f32 v[0:1], v[0:1], v[66:67]
	v_mov_b32_e32 v62, v59
	v_mov_b32_e32 v72, v75
	v_pk_add_f32 v[6:7], v[76:77], v[6:7] neg_lo:[0,1] neg_hi:[0,1]
	v_pk_add_f32 v[76:77], v[68:69], v[4:5]
	v_mov_b32_e32 v78, v59
	v_mov_b32_e32 v80, v34
	;; [unrolled: 1-line block ×4, first 2 shown]
	v_pk_fma_f32 v[34:35], v[58:59], v[26:27], v[0:1]
	v_pk_fma_f32 v[0:1], v[58:59], v[26:27], v[0:1] neg_lo:[0,0,1] neg_hi:[0,0,1]
	v_mov_b32_e32 v4, v61
	v_mov_b32_e32 v58, v36
	;; [unrolled: 1-line block ×5, first 2 shown]
	v_pk_mul_f32 v[10:11], v[10:11], v[82:83]
	v_mov_b32_e32 v26, v37
	v_mov_b32_e32 v27, v39
	v_pk_mul_f32 v[4:5], v[4:5], v[58:59]
	v_mov_b32_e32 v75, v37
	v_pk_mul_f32 v[2:3], v[2:3], v[72:73]
	v_pk_fma_f32 v[32:33], v[62:63], v[80:81], v[10:11]
	v_pk_fma_f32 v[10:11], v[78:79], v[80:81], v[10:11] neg_lo:[0,0,1] neg_hi:[0,0,1]
	v_pk_fma_f32 v[38:39], v[64:65], v[26:27], v[4:5]
	v_pk_fma_f32 v[4:5], v[64:65], v[26:27], v[4:5] neg_lo:[0,0,1] neg_hi:[0,0,1]
	;; [unrolled: 2-line block ×3, first 2 shown]
	v_mov_b32_e32 v9, v6
	v_mov_b32_e32 v33, v11
	v_mov_b32_e32 v35, v1
	v_mov_b32_e32 v39, v5
	v_mov_b32_e32 v27, v3
	v_mov_b32_e32 v10, v11
	v_mov_b32_e32 v11, v68
	v_mov_b32_e32 v68, v5
	v_pk_add_f32 v[8:9], v[8:9], v[6:7]
	v_mov_b32_e32 v36, v6
	v_mov_b32_e32 v37, v34
	v_mov_b32_e32 v6, v7
	v_mov_b32_e32 v7, v26
	v_pk_add_f32 v[4:5], v[10:11], v[68:69] neg_lo:[0,1] neg_hi:[0,1]
	v_pk_add_f32 v[10:11], v[32:33], v[38:39]
	v_pk_add_f32 v[26:27], v[34:35], v[26:27]
	v_mov_b32_e32 v2, v3
	v_mov_b32_e32 v3, v38
	;; [unrolled: 1-line block ×4, first 2 shown]
	v_pk_add_f32 v[6:7], v[36:37], v[6:7] neg_lo:[0,1] neg_hi:[0,1]
	v_pk_add_f32 v[0:1], v[2:3], v[0:1] neg_lo:[0,1] neg_hi:[0,1]
	v_mov_b32_e32 v77, v11
	v_mov_b32_e32 v8, v26
	v_mov_b32_e32 v32, v10
	v_mov_b32_e32 v33, v9
	v_mov_b32_e32 v34, v76
	v_mov_b32_e32 v35, v27
	v_pk_add_f32 v[2:3], v[76:77], v[8:9]
	v_pk_add_f32 v[32:33], v[32:33], v[34:35] neg_lo:[0,1] neg_hi:[0,1]
	v_pk_add_f32 v[34:35], v[26:27], v[10:11] neg_lo:[0,1] neg_hi:[0,1]
	v_mov_b32_e32 v38, v0
	v_mov_b32_e32 v39, v7
	;; [unrolled: 1-line block ×5, first 2 shown]
	v_pk_add_f32 v[36:37], v[0:1], v[4:5]
	v_pk_add_f32 v[38:39], v[38:39], v[58:59] neg_lo:[0,1] neg_hi:[0,1]
	v_mov_b32_e32 v58, v6
	v_mov_b32_e32 v1, v5
	v_pk_add_f32 v[2:3], v[10:11], v[2:3]
	v_pk_add_f32 v[0:1], v[58:59], v[0:1] neg_lo:[0,1] neg_hi:[0,1]
	v_pk_add_f32 v[24:25], v[24:25], v[2:3]
	v_pk_mul_f32 v[26:27], v[32:33], s[12:13]
	v_pk_mul_f32 v[38:39], v[38:39], s[22:23]
	v_pk_add_f32 v[10:11], v[36:37], v[6:7]
	v_pk_mul_f32 v[32:33], v[34:35], s[14:15]
	v_pk_mul_f32 v[36:37], v[0:1], s[20:21]
	v_pk_fma_f32 v[2:3], v[2:3], s[10:11], v[24:25] op_sel_hi:[1,0,1] neg_lo:[1,0,0] neg_hi:[1,0,0]
	v_pk_fma_f32 v[34:35], v[34:35], s[14:15], v[26:27]
	v_pk_fma_f32 v[0:1], v[0:1], s[20:21], v[38:39]
	v_pk_add_f32 v[34:35], v[34:35], v[2:3]
	v_pk_fma_f32 v[0:1], v[10:11], s[8:9], v[0:1] op_sel_hi:[1,0,1]
	s_nop 0
	v_pk_add_f32 v[58:59], v[34:35], v[0:1] neg_lo:[0,1] neg_hi:[0,1]
	v_pk_add_f32 v[34:35], v[34:35], v[0:1]
	; wave barrier
	s_nop 0
	v_mov_b32_e32 v1, v35
	v_mov_b32_e32 v35, v59
	ds_write2_b64 v71, v[24:25], v[34:35] offset1:7
	v_pk_add_f32 v[8:9], v[76:77], v[8:9] neg_lo:[0,1] neg_hi:[0,1]
	v_pk_add_f32 v[4:5], v[4:5], v[6:7] neg_lo:[0,1] neg_hi:[0,1]
	v_mov_b32_e32 v6, v32
	v_mov_b32_e32 v7, v27
	;; [unrolled: 1-line block ×6, first 2 shown]
	v_pk_fma_f32 v[6:7], v[8:9], s[16:17], v[6:7] op_sel_hi:[1,0,1] neg_lo:[1,0,1] neg_hi:[1,0,1]
	v_pk_fma_f32 v[24:25], v[4:5], s[18:19], v[24:25] op_sel_hi:[1,0,1] neg_lo:[1,0,1] neg_hi:[1,0,1]
	;; [unrolled: 1-line block ×4, first 2 shown]
	v_pk_add_f32 v[6:7], v[6:7], v[2:3]
	v_pk_fma_f32 v[24:25], v[10:11], s[8:9], v[24:25] op_sel_hi:[1,0,1]
	v_pk_add_f32 v[2:3], v[8:9], v[2:3]
	v_pk_fma_f32 v[4:5], v[10:11], s[8:9], v[4:5] op_sel_hi:[1,0,1]
	v_pk_add_f32 v[34:35], v[6:7], v[24:25]
	v_pk_add_f32 v[6:7], v[6:7], v[24:25] neg_lo:[0,1] neg_hi:[0,1]
	v_pk_add_f32 v[8:9], v[2:3], v[4:5] neg_lo:[0,1] neg_hi:[0,1]
	v_pk_add_f32 v[2:3], v[2:3], v[4:5]
	v_mov_b32_e32 v24, v34
	v_mov_b32_e32 v25, v7
	;; [unrolled: 1-line block ×7, first 2 shown]
	ds_write2_b64 v71, v[24:25], v[4:5] offset0:14 offset1:21
	ds_write2_b64 v71, v[2:3], v[6:7] offset0:28 offset1:35
	ds_write_b64 v71, v[0:1] offset:336
	s_waitcnt lgkmcnt(0)
	; wave barrier
	s_waitcnt lgkmcnt(0)
	ds_read2_b64 v[4:7], v45 offset1:21
	ds_read2_b64 v[24:27], v45 offset0:49 offset1:70
	ds_read2_b64 v[8:11], v45 offset0:98 offset1:119
	s_and_saveexec_b64 s[8:9], s[0:1]
	s_xor_b64 s[0:1], exec, s[8:9]
	s_or_saveexec_b64 s[0:1], s[0:1]
	v_mov_b32_e32 v38, v16
	v_mov_b32_e32 v39, v16
	;; [unrolled: 1-line block ×12, first 2 shown]
	v_add_u32_e32 v58, 0xa8, v45
	s_xor_b64 exec, exec, s[0:1]
	s_cbranch_execz .LBB0_7
; %bb.6:
	ds_read2_b64 v[0:3], v45 offset0:42 offset1:91
	ds_read_b64 v[28:29], v45 offset:1120
	s_waitcnt lgkmcnt(1)
	v_mov_b32_e32 v30, v2
	s_waitcnt lgkmcnt(0)
	v_mov_b32_e32 v31, v29
	v_mov_b32_e32 v29, v3
.LBB0_7:
	s_or_b64 exec, exec, s[0:1]
	s_waitcnt lgkmcnt(1)
	v_pk_mul_f32 v[2:3], v[16:17], v[24:25]
	s_waitcnt lgkmcnt(0)
	v_pk_mul_f32 v[16:17], v[18:19], v[8:9]
	v_pk_mul_f32 v[18:19], v[20:21], v[26:27]
	;; [unrolled: 1-line block ×3, first 2 shown]
	v_pk_fma_f32 v[22:23], v[38:39], v[24:25], v[2:3] op_sel:[0,0,1] op_sel_hi:[1,1,0]
	v_pk_fma_f32 v[2:3], v[38:39], v[24:25], v[2:3] op_sel:[0,0,1] op_sel_hi:[1,1,0] neg_lo:[0,0,1] neg_hi:[0,0,1]
	s_mov_b32 s0, 0x3f5db3d7
	v_mov_b32_e32 v23, v3
	v_pk_fma_f32 v[2:3], v[36:37], v[8:9], v[16:17] op_sel:[0,0,1] op_sel_hi:[1,1,0]
	v_pk_fma_f32 v[8:9], v[36:37], v[8:9], v[16:17] op_sel:[0,0,1] op_sel_hi:[1,1,0] neg_lo:[0,0,1] neg_hi:[0,0,1]
	s_nop 0
	v_mov_b32_e32 v3, v9
	v_pk_add_f32 v[8:9], v[4:5], v[22:23]
	s_nop 0
	v_pk_add_f32 v[8:9], v[8:9], v[2:3]
	ds_write_b64 v45, v[8:9]
	v_pk_add_f32 v[8:9], v[22:23], v[2:3]
	v_pk_add_f32 v[2:3], v[22:23], v[2:3] neg_lo:[0,1] neg_hi:[0,1]
	v_pk_fma_f32 v[4:5], v[8:9], 0.5, v[4:5] op_sel_hi:[1,0,1] neg_lo:[1,0,0] neg_hi:[1,0,0]
	v_pk_mul_f32 v[2:3], v[2:3], s[0:1] op_sel_hi:[1,0]
	s_nop 0
	v_pk_add_f32 v[8:9], v[4:5], v[2:3] op_sel:[0,1] op_sel_hi:[1,0] neg_lo:[0,1] neg_hi:[0,1]
	v_pk_add_f32 v[2:3], v[4:5], v[2:3] op_sel:[0,1] op_sel_hi:[1,0]
	v_mov_b32_e32 v4, v8
	v_mov_b32_e32 v5, v3
	;; [unrolled: 1-line block ×3, first 2 shown]
	ds_write2_b64 v41, v[4:5], v[2:3] offset0:49 offset1:98
	v_pk_fma_f32 v[2:3], v[34:35], v[26:27], v[18:19] op_sel:[0,0,1] op_sel_hi:[1,1,0]
	v_pk_fma_f32 v[4:5], v[34:35], v[26:27], v[18:19] op_sel:[0,0,1] op_sel_hi:[1,1,0] neg_lo:[0,0,1] neg_hi:[0,0,1]
	v_pk_fma_f32 v[8:9], v[32:33], v[10:11], v[20:21] op_sel:[0,0,1] op_sel_hi:[1,1,0] neg_lo:[0,0,1] neg_hi:[0,0,1]
	v_mov_b32_e32 v3, v5
	v_pk_fma_f32 v[4:5], v[32:33], v[10:11], v[20:21] op_sel:[0,0,1] op_sel_hi:[1,1,0]
	s_nop 0
	v_mov_b32_e32 v5, v9
	v_pk_add_f32 v[8:9], v[6:7], v[2:3]
	s_nop 0
	v_pk_add_f32 v[8:9], v[8:9], v[4:5]
	ds_write_b64 v45, v[8:9] offset:168
	v_pk_add_f32 v[8:9], v[2:3], v[4:5]
	v_pk_add_f32 v[2:3], v[2:3], v[4:5] neg_lo:[0,1] neg_hi:[0,1]
	v_pk_fma_f32 v[6:7], v[8:9], 0.5, v[6:7] op_sel_hi:[1,0,1] neg_lo:[1,0,0] neg_hi:[1,0,0]
	v_pk_mul_f32 v[2:3], v[2:3], s[0:1] op_sel_hi:[1,0]
	s_nop 0
	v_pk_add_f32 v[4:5], v[6:7], v[2:3] op_sel:[0,1] op_sel_hi:[1,0] neg_lo:[0,1] neg_hi:[0,1]
	v_pk_add_f32 v[2:3], v[6:7], v[2:3] op_sel:[0,1] op_sel_hi:[1,0]
	v_mov_b32_e32 v6, v4
	v_mov_b32_e32 v7, v3
	;; [unrolled: 1-line block ×3, first 2 shown]
	ds_write2_b64 v58, v[6:7], v[2:3] offset0:49 offset1:98
	s_and_saveexec_b64 s[8:9], vcc
	s_cbranch_execz .LBB0_9
; %bb.8:
	v_pk_mul_f32 v[2:3], v[12:13], v[28:29] op_sel:[0,1]
	v_pk_mul_f32 v[4:5], v[14:15], v[30:31] op_sel:[0,1]
	v_pk_fma_f32 v[6:7], v[12:13], v[30:31], v[2:3] op_sel:[0,0,1] op_sel_hi:[1,1,0]
	v_pk_fma_f32 v[2:3], v[12:13], v[30:31], v[2:3] op_sel:[0,0,1] op_sel_hi:[1,0,0] neg_lo:[1,0,0] neg_hi:[1,0,0]
	s_nop 0
	v_mov_b32_e32 v7, v3
	v_pk_fma_f32 v[2:3], v[14:15], v[28:29], v[4:5] op_sel:[0,0,1] op_sel_hi:[1,1,0]
	v_pk_fma_f32 v[4:5], v[14:15], v[28:29], v[4:5] op_sel:[0,0,1] op_sel_hi:[1,0,0] neg_lo:[1,0,0] neg_hi:[1,0,0]
	s_nop 0
	v_mov_b32_e32 v3, v5
	v_pk_add_f32 v[4:5], v[0:1], v[6:7]
	s_nop 0
	v_pk_add_f32 v[4:5], v[4:5], v[2:3]
	ds_write_b64 v45, v[4:5] offset:336
	v_pk_add_f32 v[4:5], v[6:7], v[2:3]
	v_pk_add_f32 v[2:3], v[6:7], v[2:3] neg_lo:[0,1] neg_hi:[0,1]
	v_pk_fma_f32 v[0:1], -0.5, v[4:5], v[0:1] op_sel_hi:[0,1,1]
	v_pk_mul_f32 v[2:3], v[2:3], s[0:1] op_sel_hi:[1,0]
	s_nop 0
	v_pk_add_f32 v[4:5], v[0:1], v[2:3] op_sel:[0,1] op_sel_hi:[1,0] neg_lo:[0,1] neg_hi:[0,1]
	v_pk_add_f32 v[0:1], v[0:1], v[2:3] op_sel:[0,1] op_sel_hi:[1,0]
	v_mov_b32_e32 v2, v4
	v_mov_b32_e32 v3, v1
	;; [unrolled: 1-line block ×3, first 2 shown]
	ds_write2_b64 v41, v[2:3], v[0:1] offset0:91 offset1:140
.LBB0_9:
	s_or_b64 exec, exec, s[8:9]
	s_waitcnt lgkmcnt(0)
	; wave barrier
	s_waitcnt lgkmcnt(0)
	ds_read2_b64 v[0:3], v45 offset1:21
	v_mad_u64_u32 v[6:7], s[0:1], s6, v44, 0
	v_mov_b32_e32 v8, v7
	v_mad_u64_u32 v[8:9], s[0:1], s7, v44, v[8:9]
	v_mov_b32_e32 v7, v8
	s_waitcnt lgkmcnt(0)
	v_mul_f32_e32 v8, v57, v1
	v_fmac_f32_e32 v8, v56, v0
	v_mul_f32_e32 v0, v57, v0
	s_mov_b32 s0, 0x899406f7
	v_fma_f32 v0, v56, v1, -v0
	v_cvt_f64_f32_e32 v[8:9], v8
	s_mov_b32 s1, 0x3f7bdd2b
	v_cvt_f64_f32_e32 v[0:1], v0
	v_mul_f64 v[8:9], v[8:9], s[0:1]
	v_mul_f64 v[0:1], v[0:1], s[0:1]
	v_mov_b32_e32 v4, s2
	v_mov_b32_e32 v5, s3
	v_cvt_f32_f64_e32 v8, v[8:9]
	v_cvt_f32_f64_e32 v9, v[0:1]
	v_mad_u64_u32 v[0:1], s[2:3], s4, v40, 0
	v_mov_b32_e32 v10, v1
	v_mad_u64_u32 v[10:11], s[2:3], s5, v40, v[10:11]
	v_mov_b32_e32 v1, v10
	v_lshl_add_u64 v[4:5], v[6:7], 3, v[4:5]
	v_lshl_add_u64 v[4:5], v[0:1], 3, v[4:5]
	v_mul_f32_e32 v0, v55, v3
	v_fmac_f32_e32 v0, v54, v2
	v_cvt_f64_f32_e32 v[0:1], v0
	v_mul_f64 v[0:1], v[0:1], s[0:1]
	v_cvt_f32_f64_e32 v6, v[0:1]
	v_mul_f32_e32 v0, v55, v2
	v_fma_f32 v0, v54, v3, -v0
	v_cvt_f64_f32_e32 v[0:1], v0
	v_mul_f64 v[0:1], v[0:1], s[0:1]
	v_cvt_f32_f64_e32 v7, v[0:1]
	ds_read2_b64 v[0:3], v45 offset0:42 offset1:63
	global_store_dwordx2 v[4:5], v[8:9], off
	v_mov_b32_e32 v8, 0xa8
	v_mad_u64_u32 v[4:5], s[2:3], s4, v8, v[4:5]
	s_mulk_i32 s5, 0xa8
	v_add_u32_e32 v5, s5, v5
	global_store_dwordx2 v[4:5], v[6:7], off
	s_waitcnt lgkmcnt(0)
	v_mul_f32_e32 v6, v53, v1
	v_fmac_f32_e32 v6, v52, v0
	v_mul_f32_e32 v0, v53, v0
	v_fma_f32 v0, v52, v1, -v0
	v_cvt_f64_f32_e32 v[6:7], v6
	v_cvt_f64_f32_e32 v[0:1], v0
	v_mul_f64 v[6:7], v[6:7], s[0:1]
	v_mul_f64 v[0:1], v[0:1], s[0:1]
	v_cvt_f32_f64_e32 v6, v[6:7]
	v_cvt_f32_f64_e32 v7, v[0:1]
	v_mul_f32_e32 v0, v51, v3
	v_fmac_f32_e32 v0, v50, v2
	v_mad_u64_u32 v[4:5], s[2:3], s4, v8, v[4:5]
	v_cvt_f64_f32_e32 v[0:1], v0
	v_add_u32_e32 v5, s5, v5
	v_mul_f64 v[0:1], v[0:1], s[0:1]
	global_store_dwordx2 v[4:5], v[6:7], off
	v_cvt_f32_f64_e32 v6, v[0:1]
	v_mul_f32_e32 v0, v51, v2
	v_fma_f32 v0, v50, v3, -v0
	v_cvt_f64_f32_e32 v[0:1], v0
	v_mul_f64 v[0:1], v[0:1], s[0:1]
	v_cvt_f32_f64_e32 v7, v[0:1]
	ds_read2_b64 v[0:3], v45 offset0:84 offset1:105
	v_mad_u64_u32 v[4:5], s[2:3], s4, v8, v[4:5]
	v_add_u32_e32 v5, s5, v5
	global_store_dwordx2 v[4:5], v[6:7], off
	s_waitcnt lgkmcnt(0)
	v_mul_f32_e32 v6, v49, v1
	v_fmac_f32_e32 v6, v48, v0
	v_mul_f32_e32 v0, v49, v0
	v_fma_f32 v0, v48, v1, -v0
	v_cvt_f64_f32_e32 v[6:7], v6
	v_cvt_f64_f32_e32 v[0:1], v0
	v_mul_f64 v[6:7], v[6:7], s[0:1]
	v_mul_f64 v[0:1], v[0:1], s[0:1]
	v_cvt_f32_f64_e32 v6, v[6:7]
	v_cvt_f32_f64_e32 v7, v[0:1]
	v_mad_u64_u32 v[0:1], s[2:3], s4, v8, v[4:5]
	v_mul_f32_e32 v4, v47, v3
	v_fmac_f32_e32 v4, v46, v2
	v_mul_f32_e32 v2, v47, v2
	v_fma_f32 v2, v46, v3, -v2
	v_cvt_f64_f32_e32 v[4:5], v4
	v_cvt_f64_f32_e32 v[2:3], v2
	v_mul_f64 v[4:5], v[4:5], s[0:1]
	v_mul_f64 v[2:3], v[2:3], s[0:1]
	v_cvt_f32_f64_e32 v4, v[4:5]
	v_cvt_f32_f64_e32 v5, v[2:3]
	ds_read_b64 v[2:3], v45 offset:1008
	v_add_u32_e32 v1, s5, v1
	global_store_dwordx2 v[0:1], v[6:7], off
	v_mad_u64_u32 v[0:1], s[2:3], s4, v8, v[0:1]
	v_add_u32_e32 v1, s5, v1
	global_store_dwordx2 v[0:1], v[4:5], off
	s_waitcnt lgkmcnt(0)
	v_mul_f32_e32 v4, v43, v3
	v_fmac_f32_e32 v4, v42, v2
	v_mul_f32_e32 v2, v43, v2
	v_fma_f32 v2, v42, v3, -v2
	v_cvt_f64_f32_e32 v[4:5], v4
	v_cvt_f64_f32_e32 v[2:3], v2
	v_mul_f64 v[4:5], v[4:5], s[0:1]
	v_mul_f64 v[2:3], v[2:3], s[0:1]
	v_mad_u64_u32 v[0:1], s[0:1], s4, v8, v[0:1]
	v_cvt_f32_f64_e32 v4, v[4:5]
	v_cvt_f32_f64_e32 v5, v[2:3]
	v_add_u32_e32 v1, s5, v1
	global_store_dwordx2 v[0:1], v[4:5], off
.LBB0_10:
	s_endpgm
	.section	.rodata,"a",@progbits
	.p2align	6, 0x0
	.amdhsa_kernel bluestein_single_fwd_len147_dim1_sp_op_CI_CI
		.amdhsa_group_segment_fixed_size 3528
		.amdhsa_private_segment_fixed_size 0
		.amdhsa_kernarg_size 104
		.amdhsa_user_sgpr_count 2
		.amdhsa_user_sgpr_dispatch_ptr 0
		.amdhsa_user_sgpr_queue_ptr 0
		.amdhsa_user_sgpr_kernarg_segment_ptr 1
		.amdhsa_user_sgpr_dispatch_id 0
		.amdhsa_user_sgpr_kernarg_preload_length 0
		.amdhsa_user_sgpr_kernarg_preload_offset 0
		.amdhsa_user_sgpr_private_segment_size 0
		.amdhsa_uses_dynamic_stack 0
		.amdhsa_enable_private_segment 0
		.amdhsa_system_sgpr_workgroup_id_x 1
		.amdhsa_system_sgpr_workgroup_id_y 0
		.amdhsa_system_sgpr_workgroup_id_z 0
		.amdhsa_system_sgpr_workgroup_info 0
		.amdhsa_system_vgpr_workitem_id 0
		.amdhsa_next_free_vgpr 87
		.amdhsa_next_free_sgpr 26
		.amdhsa_accum_offset 88
		.amdhsa_reserve_vcc 1
		.amdhsa_float_round_mode_32 0
		.amdhsa_float_round_mode_16_64 0
		.amdhsa_float_denorm_mode_32 3
		.amdhsa_float_denorm_mode_16_64 3
		.amdhsa_dx10_clamp 1
		.amdhsa_ieee_mode 1
		.amdhsa_fp16_overflow 0
		.amdhsa_tg_split 0
		.amdhsa_exception_fp_ieee_invalid_op 0
		.amdhsa_exception_fp_denorm_src 0
		.amdhsa_exception_fp_ieee_div_zero 0
		.amdhsa_exception_fp_ieee_overflow 0
		.amdhsa_exception_fp_ieee_underflow 0
		.amdhsa_exception_fp_ieee_inexact 0
		.amdhsa_exception_int_div_zero 0
	.end_amdhsa_kernel
	.text
.Lfunc_end0:
	.size	bluestein_single_fwd_len147_dim1_sp_op_CI_CI, .Lfunc_end0-bluestein_single_fwd_len147_dim1_sp_op_CI_CI
                                        ; -- End function
	.section	.AMDGPU.csdata,"",@progbits
; Kernel info:
; codeLenInByte = 5932
; NumSgprs: 32
; NumVgprs: 87
; NumAgprs: 0
; TotalNumVgprs: 87
; ScratchSize: 0
; MemoryBound: 0
; FloatMode: 240
; IeeeMode: 1
; LDSByteSize: 3528 bytes/workgroup (compile time only)
; SGPRBlocks: 3
; VGPRBlocks: 10
; NumSGPRsForWavesPerEU: 32
; NumVGPRsForWavesPerEU: 87
; AccumOffset: 88
; Occupancy: 5
; WaveLimiterHint : 1
; COMPUTE_PGM_RSRC2:SCRATCH_EN: 0
; COMPUTE_PGM_RSRC2:USER_SGPR: 2
; COMPUTE_PGM_RSRC2:TRAP_HANDLER: 0
; COMPUTE_PGM_RSRC2:TGID_X_EN: 1
; COMPUTE_PGM_RSRC2:TGID_Y_EN: 0
; COMPUTE_PGM_RSRC2:TGID_Z_EN: 0
; COMPUTE_PGM_RSRC2:TIDIG_COMP_CNT: 0
; COMPUTE_PGM_RSRC3_GFX90A:ACCUM_OFFSET: 21
; COMPUTE_PGM_RSRC3_GFX90A:TG_SPLIT: 0
	.text
	.p2alignl 6, 3212836864
	.fill 256, 4, 3212836864
	.type	__hip_cuid_8619c0275fca8fe9,@object ; @__hip_cuid_8619c0275fca8fe9
	.section	.bss,"aw",@nobits
	.globl	__hip_cuid_8619c0275fca8fe9
__hip_cuid_8619c0275fca8fe9:
	.byte	0                               ; 0x0
	.size	__hip_cuid_8619c0275fca8fe9, 1

	.ident	"AMD clang version 19.0.0git (https://github.com/RadeonOpenCompute/llvm-project roc-6.4.0 25133 c7fe45cf4b819c5991fe208aaa96edf142730f1d)"
	.section	".note.GNU-stack","",@progbits
	.addrsig
	.addrsig_sym __hip_cuid_8619c0275fca8fe9
	.amdgpu_metadata
---
amdhsa.kernels:
  - .agpr_count:     0
    .args:
      - .actual_access:  read_only
        .address_space:  global
        .offset:         0
        .size:           8
        .value_kind:     global_buffer
      - .actual_access:  read_only
        .address_space:  global
        .offset:         8
        .size:           8
        .value_kind:     global_buffer
      - .actual_access:  read_only
        .address_space:  global
        .offset:         16
        .size:           8
        .value_kind:     global_buffer
      - .actual_access:  read_only
        .address_space:  global
        .offset:         24
        .size:           8
        .value_kind:     global_buffer
      - .actual_access:  read_only
        .address_space:  global
        .offset:         32
        .size:           8
        .value_kind:     global_buffer
      - .offset:         40
        .size:           8
        .value_kind:     by_value
      - .address_space:  global
        .offset:         48
        .size:           8
        .value_kind:     global_buffer
      - .address_space:  global
        .offset:         56
        .size:           8
        .value_kind:     global_buffer
      - .address_space:  global
        .offset:         64
        .size:           8
        .value_kind:     global_buffer
      - .address_space:  global
        .offset:         72
        .size:           8
        .value_kind:     global_buffer
      - .offset:         80
        .size:           4
        .value_kind:     by_value
      - .address_space:  global
        .offset:         88
        .size:           8
        .value_kind:     global_buffer
      - .address_space:  global
        .offset:         96
        .size:           8
        .value_kind:     global_buffer
    .group_segment_fixed_size: 3528
    .kernarg_segment_align: 8
    .kernarg_segment_size: 104
    .language:       OpenCL C
    .language_version:
      - 2
      - 0
    .max_flat_workgroup_size: 63
    .name:           bluestein_single_fwd_len147_dim1_sp_op_CI_CI
    .private_segment_fixed_size: 0
    .sgpr_count:     32
    .sgpr_spill_count: 0
    .symbol:         bluestein_single_fwd_len147_dim1_sp_op_CI_CI.kd
    .uniform_work_group_size: 1
    .uses_dynamic_stack: false
    .vgpr_count:     87
    .vgpr_spill_count: 0
    .wavefront_size: 64
amdhsa.target:   amdgcn-amd-amdhsa--gfx950
amdhsa.version:
  - 1
  - 2
...

	.end_amdgpu_metadata
